;; amdgpu-corpus repo=zjin-lcf/HeCBench kind=compiled arch=gfx90a opt=O3
	.text
	.amdgcn_target "amdgcn-amd-amdhsa--gfx90a"
	.amdhsa_code_object_version 6
	.protected	_Z3epiPKjS0_Pfiiiii     ; -- Begin function _Z3epiPKjS0_Pfiiiii
	.globl	_Z3epiPKjS0_Pfiiiii
	.p2align	8
	.type	_Z3epiPKjS0_Pfiiiii,@function
_Z3epiPKjS0_Pfiiiii:                    ; @_Z3epiPKjS0_Pfiiiii
; %bb.0:
	s_load_dword s0, s[4:5], 0x3c
	s_load_dwordx4 s[8:11], s[4:5], 0x18
	v_and_b32_e32 v1, 0x3ff, v0
	v_bfe_u32 v0, v0, 10, 10
	s_waitcnt lgkmcnt(0)
	s_and_b32 s1, s0, 0xffff
	s_lshr_b32 s0, s0, 16
	s_mul_i32 s7, s7, s0
	s_mul_i32 s6, s6, s1
	v_add_u32_e32 v2, s6, v1
	v_add_u32_e32 v3, s7, v0
	v_max_i32_e32 v0, v3, v2
	v_cmp_gt_i32_e32 vcc, v2, v3
	v_cmp_gt_i32_e64 s[0:1], s8, v0
	s_and_b64 s[0:1], s[0:1], vcc
	s_and_saveexec_b64 s[2:3], s[0:1]
	s_cbranch_execz .LBB0_18
; %bb.1:
	s_load_dword s22, s[4:5], 0x28
	s_load_dwordx4 s[12:15], s[4:5], 0x0
	s_load_dwordx2 s[6:7], s[4:5], 0x10
	v_lshlrev_b32_e32 v0, 1, v3
	v_ashrrev_i32_e32 v1, 31, v0
	v_lshlrev_b64 v[0:1], 2, v[0:1]
	s_waitcnt lgkmcnt(0)
	v_mov_b32_e32 v4, s13
	v_add_co_u32_e32 v15, vcc, s12, v0
	v_addc_co_u32_e32 v14, vcc, v4, v1, vcc
	v_lshlrev_b32_e32 v4, 1, v2
	v_ashrrev_i32_e32 v5, 31, v4
	v_lshlrev_b64 v[4:5], 2, v[4:5]
	v_mov_b32_e32 v6, s13
	v_add_co_u32_e32 v16, vcc, s12, v4
	s_lshl_b32 s17, s8, 1
	v_addc_co_u32_e32 v17, vcc, v6, v5, vcc
	v_cvt_f32_u32_e32 v6, s17
	s_lshl_b32 s0, s9, 1
	s_add_i32 s0, s0, -2
	s_mul_i32 s18, s0, s8
	v_rcp_iflag_f32_e32 v24, v6
	s_mov_b32 s2, 0
	s_cmp_lt_i32 s18, 1
	v_mov_b32_e32 v28, 0
	v_mov_b32_e32 v29, 0
	;; [unrolled: 1-line block ×10, first 2 shown]
	s_cbranch_scc1 .LBB0_9
; %bb.2:
	v_mul_f32_e32 v6, 0x4f7ffffe, v24
	v_cvt_u32_f32_e32 v6, v6
	s_sub_i32 s1, 0, s17
	s_max_i32 s0, s18, s17
	s_add_i32 s0, s0, -1
	v_readfirstlane_b32 s3, v6
	s_mul_i32 s1, s1, s3
	s_mul_hi_u32 s1, s3, s1
	s_add_i32 s3, s3, s1
	s_mul_hi_u32 s1, s0, s3
	s_mul_i32 s3, s1, s17
	s_sub_i32 s0, s0, s3
	s_add_i32 s3, s1, 1
	s_sub_i32 s4, s0, s17
	s_cmp_ge_u32 s0, s17
	s_cselect_b32 s1, s3, s1
	s_cselect_b32 s0, s4, s0
	s_add_i32 s3, s1, 1
	s_cmp_ge_u32 s0, s17
	s_cselect_b32 s9, s3, s1
	s_add_i32 s9, s9, 1
	s_cmp_lt_u32 s9, 2
	v_mov_b32_e32 v29, 0
	s_cbranch_scc1 .LBB0_6
; %bb.3:
	s_and_b32 s19, s9, -2
	s_mov_b32 s16, 0
	s_lshl_b32 s23, s8, 2
	s_mov_b32 s24, s23
	v_mov_b32_e32 v6, 0
	s_mov_b32 s25, s19
	s_mov_b64 s[20:21], s[16:17]
	v_mov_b32_e32 v7, 0
	v_mov_b32_e32 v8, 0
	;; [unrolled: 1-line block ×17, first 2 shown]
.LBB0_4:                                ; =>This Inner Loop Header: Depth=1
	s_ashr_i32 s1, s21, 31
	s_mov_b32 s0, s21
	s_ashr_i32 s3, s20, 31
	s_mov_b32 s2, s20
	s_or_b32 s4, s20, 1
	s_or_b32 s26, s21, 1
	s_lshl_b64 s[28:29], s[2:3], 2
	s_lshl_b64 s[2:3], s[0:1], 2
	s_ashr_i32 s5, s4, 31
	s_ashr_i32 s27, s26, 31
	v_mov_b32_e32 v33, s29
	v_mov_b32_e32 v35, s3
	v_add_co_u32_e32 v30, vcc, s2, v15
	s_lshl_b64 s[30:31], s[4:5], 2
	v_add_co_u32_e64 v32, s[0:1], s28, v16
	v_add_co_u32_e64 v34, s[2:3], s2, v16
	;; [unrolled: 1-line block ×3, first 2 shown]
	s_lshl_b64 s[26:27], s[26:27], 2
	v_addc_co_u32_e64 v37, s[4:5], v14, v33, s[4:5]
	v_addc_co_u32_e32 v31, vcc, v14, v35, vcc
	v_addc_co_u32_e64 v33, s[0:1], v17, v33, s[0:1]
	v_addc_co_u32_e64 v35, s[0:1], v17, v35, s[2:3]
	v_mov_b32_e32 v41, s31
	v_mov_b32_e32 v43, s27
	v_add_co_u32_e32 v38, vcc, s26, v15
	v_add_co_u32_e64 v40, s[0:1], s30, v16
	v_add_co_u32_e64 v42, s[2:3], s26, v16
	;; [unrolled: 1-line block ×3, first 2 shown]
	v_addc_co_u32_e64 v45, s[4:5], v14, v41, s[4:5]
	v_addc_co_u32_e32 v39, vcc, v14, v43, vcc
	v_addc_co_u32_e64 v41, vcc, v17, v41, s[0:1]
	v_addc_co_u32_e64 v43, vcc, v17, v43, s[2:3]
	global_load_dword v46, v[36:37], off
	global_load_dword v47, v[30:31], off
	;; [unrolled: 1-line block ×8, first 2 shown]
	s_add_i32 s21, s21, s24
	s_add_i32 s20, s20, s23
	s_add_i32 s25, s25, -2
	s_cmp_lg_u32 s25, 0
	s_waitcnt vmcnt(5)
	v_or_b32_e32 v30, v48, v46
	s_waitcnt vmcnt(4)
	v_or_b32_e32 v31, v49, v47
	s_waitcnt vmcnt(3)
	v_and_b32_e32 v34, v50, v46
	s_waitcnt vmcnt(2)
	v_and_b32_e32 v35, v51, v47
	s_waitcnt vmcnt(1)
	v_or_b32_e32 v32, v52, v50
	s_waitcnt vmcnt(0)
	v_or_b32_e32 v33, v53, v51
	v_and_b32_e32 v36, v52, v46
	v_and_b32_e32 v37, v53, v47
	;; [unrolled: 1-line block ×6, first 2 shown]
	v_not_b32_e32 v31, v31
	v_not_b32_e32 v30, v30
	;; [unrolled: 1-line block ×4, first 2 shown]
	v_bcnt_u32_b32 v29, v35, v29
	v_bcnt_u32_b32 v27, v34, v27
	;; [unrolled: 1-line block ×8, first 2 shown]
	v_and_b32_e32 v34, v46, v32
	v_and_b32_e32 v35, v47, v33
	;; [unrolled: 1-line block ×10, first 2 shown]
	v_bcnt_u32_b32 v23, v35, v23
	v_bcnt_u32_b32 v22, v34, v22
	;; [unrolled: 1-line block ×10, first 2 shown]
	s_cbranch_scc1 .LBB0_4
; %bb.5:
	s_cmp_lg_u32 s9, s19
	s_mul_i32 s2, s19, s17
	v_add_u32_e32 v7, v6, v7
	v_add_u32_e32 v6, v8, v9
	;; [unrolled: 1-line block ×9, first 2 shown]
	s_cselect_b64 s[0:1], -1, 0
	s_and_b64 vcc, exec, s[0:1]
	s_cbranch_vccnz .LBB0_7
	s_branch .LBB0_9
.LBB0_6:
	s_mov_b32 s3, s2
	v_pk_mov_b32 v[8:9], s[2:3], s[2:3] op_sel:[0,1]
	v_pk_mov_b32 v[12:13], s[2:3], s[2:3] op_sel:[0,1]
	v_pk_mov_b32 v[10:11], s[2:3], s[2:3] op_sel:[0,1]
	v_pk_mov_b32 v[6:7], s[2:3], s[2:3] op_sel:[0,1]
	s_cbranch_execz .LBB0_9
.LBB0_7:
	s_ashr_i32 s3, s2, 31
	s_lshl_b64 s[0:1], s[2:3], 2
	s_add_u32 s3, s12, s0
	v_add_co_u32_e32 v18, vcc, 4, v4
	s_addc_u32 s9, s13, s1
	s_ashr_i32 s1, s17, 31
	s_mov_b32 s0, s17
	v_addc_co_u32_e32 v19, vcc, 0, v5, vcc
	s_lshl_b64 s[4:5], s[0:1], 2
.LBB0_8:                                ; =>This Inner Loop Header: Depth=1
	v_mov_b32_e32 v21, s9
	v_add_co_u32_e64 v22, s[0:1], s3, v0
	v_add_co_u32_e32 v20, vcc, s3, v18
	v_addc_co_u32_e64 v23, s[0:1], v21, v1, s[0:1]
	v_addc_co_u32_e32 v21, vcc, v21, v19, vcc
	global_load_dwordx2 v[26:27], v[22:23], off
	global_load_dwordx2 v[30:31], v[20:21], off offset:-4
	s_add_i32 s2, s2, s17
	s_add_u32 s3, s3, s4
	s_addc_u32 s9, s9, s5
	s_cmp_lt_i32 s2, s18
	s_waitcnt vmcnt(1)
	v_or_b32_e32 v20, v27, v26
	s_waitcnt vmcnt(0)
	v_or_b32_e32 v21, v31, v30
	v_and_b32_e32 v22, v30, v26
	v_and_b32_e32 v23, v30, v27
	;; [unrolled: 1-line block ×3, first 2 shown]
	v_not_b32_e32 v21, v21
	v_not_b32_e32 v20, v20
	v_and_b32_e32 v32, v26, v31
	v_bcnt_u32_b32 v29, v22, v29
	v_bcnt_u32_b32 v13, v25, v13
	;; [unrolled: 1-line block ×3, first 2 shown]
	v_and_b32_e32 v22, v30, v20
	v_and_b32_e32 v23, v27, v21
	;; [unrolled: 1-line block ×5, first 2 shown]
	v_bcnt_u32_b32 v8, v32, v8
	v_bcnt_u32_b32 v9, v25, v9
	v_bcnt_u32_b32 v11, v23, v11
	v_bcnt_u32_b32 v10, v22, v10
	v_bcnt_u32_b32 v7, v21, v7
	v_bcnt_u32_b32 v6, v20, v6
	s_cbranch_scc1 .LBB0_8
.LBB0_9:
	s_ashr_i32 s19, s18, 31
	s_lshl_b64 s[0:1], s[18:19], 2
	v_mov_b32_e32 v18, s1
	v_add_co_u32_e32 v20, vcc, s0, v15
	v_addc_co_u32_e32 v21, vcc, v14, v18, vcc
	v_add_co_u32_e32 v14, vcc, s0, v16
	v_addc_co_u32_e32 v15, vcc, v17, v18, vcc
	global_load_dwordx2 v[16:17], v[20:21], off
	global_load_dwordx2 v[18:19], v[14:15], off
	v_mov_b32_e32 v14, s15
	v_add_co_u32_e32 v32, vcc, s14, v0
	s_lshl_b32 s0, s10, 1
	v_addc_co_u32_e32 v31, vcc, v14, v1, vcc
	s_add_i32 s0, s0, -2
	v_add_co_u32_e32 v25, vcc, s14, v4
	s_mul_i32 s12, s0, s8
	v_addc_co_u32_e32 v30, vcc, v14, v5, vcc
	s_mov_b32 s2, 0
	s_cmp_lt_i32 s12, 1
	v_mov_b32_e32 v22, 0
	v_mov_b32_e32 v23, 0
	;; [unrolled: 1-line block ×8, first 2 shown]
	s_cbranch_scc1 .LBB0_17
; %bb.10:
	v_mul_f32_e32 v14, 0x4f7ffffe, v24
	v_cvt_u32_f32_e32 v14, v14
	s_sub_i32 s1, 0, s17
	s_max_i32 s0, s12, s17
	s_add_i32 s0, s0, -1
	v_readfirstlane_b32 s3, v14
	s_mul_i32 s1, s1, s3
	s_mul_hi_u32 s1, s3, s1
	s_add_i32 s3, s3, s1
	s_mul_hi_u32 s1, s0, s3
	s_mul_i32 s3, s1, s17
	s_sub_i32 s0, s0, s3
	s_add_i32 s3, s1, 1
	s_sub_i32 s4, s0, s17
	s_cmp_ge_u32 s0, s17
	s_cselect_b32 s1, s3, s1
	s_cselect_b32 s0, s4, s0
	s_add_i32 s3, s1, 1
	s_cmp_ge_u32 s0, s17
	s_cselect_b32 s9, s3, s1
	s_add_i32 s9, s9, 1
	s_cmp_lt_u32 s9, 2
	v_mov_b32_e32 v28, 0
	s_cbranch_scc1 .LBB0_14
; %bb.11:
	s_and_b32 s10, s9, -2
	s_mov_b32 s16, 0
	s_lshl_b32 s13, s8, 2
	s_mov_b32 s20, s13
	v_mov_b32_e32 v14, 0
	s_mov_b32 s21, s10
	s_mov_b64 s[18:19], s[16:17]
	v_mov_b32_e32 v15, 0
	v_mov_b32_e32 v20, 0
	;; [unrolled: 1-line block ×17, first 2 shown]
.LBB0_12:                               ; =>This Inner Loop Header: Depth=1
	s_ashr_i32 s1, s19, 31
	s_mov_b32 s0, s19
	s_ashr_i32 s3, s18, 31
	s_mov_b32 s2, s18
	s_or_b32 s4, s18, 1
	s_or_b32 s24, s19, 1
	s_lshl_b64 s[26:27], s[2:3], 2
	s_lshl_b64 s[2:3], s[0:1], 2
	s_ashr_i32 s5, s4, 31
	s_ashr_i32 s25, s24, 31
	v_mov_b32_e32 v43, s27
	v_mov_b32_e32 v47, s3
	v_add_co_u32_e32 v22, vcc, s2, v32
	s_lshl_b64 s[28:29], s[4:5], 2
	v_add_co_u32_e64 v44, s[0:1], s26, v25
	v_add_co_u32_e64 v46, s[2:3], s2, v25
	;; [unrolled: 1-line block ×3, first 2 shown]
	s_lshl_b64 s[24:25], s[24:25], 2
	v_addc_co_u32_e64 v49, s[4:5], v31, v43, s[4:5]
	v_addc_co_u32_e32 v23, vcc, v31, v47, vcc
	v_addc_co_u32_e64 v45, s[0:1], v30, v43, s[0:1]
	v_addc_co_u32_e64 v47, s[0:1], v30, v47, s[2:3]
	v_mov_b32_e32 v53, s29
	v_mov_b32_e32 v55, s25
	v_add_co_u32_e32 v50, vcc, s24, v32
	v_add_co_u32_e64 v52, s[0:1], s28, v25
	v_add_co_u32_e64 v54, s[2:3], s24, v25
	;; [unrolled: 1-line block ×3, first 2 shown]
	v_addc_co_u32_e64 v57, s[4:5], v31, v53, s[4:5]
	v_addc_co_u32_e32 v51, vcc, v31, v55, vcc
	v_addc_co_u32_e64 v53, vcc, v30, v53, s[0:1]
	v_addc_co_u32_e64 v55, vcc, v30, v55, s[2:3]
	global_load_dword v43, v[48:49], off
	global_load_dword v58, v[22:23], off
	;; [unrolled: 1-line block ×7, first 2 shown]
                                        ; kill: killed $vgpr48 killed $vgpr49
                                        ; kill: killed $vgpr44 killed $vgpr45
                                        ; kill: killed $vgpr50 killed $vgpr51
                                        ; kill: killed $vgpr56 killed $vgpr57
                                        ; kill: killed $vgpr46 killed $vgpr47
                                        ; kill: killed $vgpr52 killed $vgpr53
                                        ; kill: killed $vgpr22 killed $vgpr23
	global_load_dword v22, v[54:55], off
	s_add_i32 s19, s19, s20
	s_add_i32 s18, s18, s13
	s_add_i32 s21, s21, -2
	s_cmp_lg_u32 s21, 0
	s_waitcnt vmcnt(5)
	v_or_b32_e32 v23, v59, v43
	s_waitcnt vmcnt(4)
	v_or_b32_e32 v44, v60, v58
	s_waitcnt vmcnt(3)
	v_and_b32_e32 v47, v61, v43
	s_waitcnt vmcnt(2)
	v_and_b32_e32 v48, v62, v58
	s_waitcnt vmcnt(1)
	v_or_b32_e32 v45, v63, v61
	v_and_b32_e32 v49, v63, v43
	v_and_b32_e32 v51, v61, v59
	;; [unrolled: 1-line block ×3, first 2 shown]
	v_not_b32_e32 v44, v44
	v_not_b32_e32 v23, v23
	;; [unrolled: 1-line block ×3, first 2 shown]
	v_and_b32_e32 v53, v63, v59
	s_waitcnt vmcnt(0)
	v_or_b32_e32 v46, v22, v62
	v_and_b32_e32 v50, v22, v58
	v_not_b32_e32 v46, v46
	v_and_b32_e32 v54, v22, v60
	v_bcnt_u32_b32 v42, v48, v42
	v_bcnt_u32_b32 v41, v47, v41
	;; [unrolled: 1-line block ×6, first 2 shown]
	v_and_b32_e32 v43, v43, v45
	v_and_b32_e32 v47, v58, v46
	;; [unrolled: 1-line block ×10, first 2 shown]
	v_bcnt_u32_b32 v34, v54, v34
	v_bcnt_u32_b32 v33, v53, v33
	;; [unrolled: 1-line block ×12, first 2 shown]
	s_cbranch_scc1 .LBB0_12
; %bb.13:
	s_cmp_lg_u32 s9, s10
	s_mul_i32 s2, s10, s17
	v_add_u32_e32 v23, v14, v15
	v_add_u32_e32 v22, v20, v21
	;; [unrolled: 1-line block ×9, first 2 shown]
	s_cselect_b64 s[0:1], -1, 0
	s_and_b64 vcc, exec, s[0:1]
	s_cbranch_vccnz .LBB0_15
	s_branch .LBB0_17
.LBB0_14:
	s_mov_b32 s3, s2
	v_pk_mov_b32 v[20:21], s[2:3], s[2:3] op_sel:[0,1]
	v_pk_mov_b32 v[26:27], s[2:3], s[2:3] op_sel:[0,1]
	;; [unrolled: 1-line block ×4, first 2 shown]
	s_cbranch_execz .LBB0_17
.LBB0_15:
	s_ashr_i32 s3, s2, 31
	s_lshl_b64 s[0:1], s[2:3], 2
	s_add_u32 s3, s14, s0
	v_add_co_u32_e32 v4, vcc, 4, v4
	s_addc_u32 s9, s15, s1
	s_ashr_i32 s1, s17, 31
	s_mov_b32 s0, s17
	v_addc_co_u32_e32 v5, vcc, 0, v5, vcc
	s_lshl_b64 s[4:5], s[0:1], 2
.LBB0_16:                               ; =>This Inner Loop Header: Depth=1
	v_mov_b32_e32 v24, s9
	v_add_co_u32_e64 v36, s[0:1], s3, v0
	v_add_co_u32_e32 v34, vcc, s3, v4
	v_addc_co_u32_e64 v37, s[0:1], v24, v1, s[0:1]
	v_addc_co_u32_e32 v35, vcc, v24, v5, vcc
	global_load_dwordx2 v[38:39], v[36:37], off
	global_load_dwordx2 v[40:41], v[34:35], off offset:-4
	s_add_i32 s2, s2, s17
	s_add_u32 s3, s3, s4
	s_addc_u32 s9, s9, s5
	s_cmp_lt_i32 s2, s12
	s_waitcnt vmcnt(1)
	v_or_b32_e32 v35, v39, v38
	s_waitcnt vmcnt(0)
	v_and_b32_e32 v24, v40, v38
	v_and_b32_e32 v33, v40, v39
	v_or_b32_e32 v36, v41, v40
	v_and_b32_e32 v34, v41, v39
	v_bcnt_u32_b32 v28, v24, v28
	v_bcnt_u32_b32 v26, v33, v26
	v_not_b32_e32 v24, v36
	v_not_b32_e32 v33, v35
	v_and_b32_e32 v37, v38, v41
	v_bcnt_u32_b32 v27, v34, v27
	v_and_b32_e32 v34, v40, v33
	v_and_b32_e32 v35, v39, v24
	;; [unrolled: 1-line block ×5, first 2 shown]
	v_bcnt_u32_b32 v20, v37, v20
	v_bcnt_u32_b32 v21, v36, v21
	;; [unrolled: 1-line block ×6, first 2 shown]
	s_cbranch_scc1 .LBB0_16
.LBB0_17:
	s_ashr_i32 s13, s12, 31
	s_lshl_b64 s[0:1], s[12:13], 2
	v_mov_b32_e32 v4, s1
	v_add_co_u32_e32 v0, vcc, s0, v32
	v_addc_co_u32_e32 v1, vcc, v31, v4, vcc
	v_add_co_u32_e32 v32, vcc, s0, v25
	v_addc_co_u32_e32 v33, vcc, v30, v4, vcc
	global_load_dwordx2 v[4:5], v[0:1], off
	global_load_dwordx2 v[24:25], v[32:33], off
	s_waitcnt vmcnt(2)
	v_and_b32_e32 v31, v18, v16
	v_and_b32_e32 v33, v18, v17
	v_bcnt_u32_b32 v37, v31, v29
	v_bcnt_u32_b32 v38, v33, v12
	v_cvt_f32_u32_e32 v33, v37
	v_or_b32_e32 v34, v17, v16
	v_or_b32_e32 v35, v19, v18
	v_and_b32_e32 v32, v19, v17
	v_mad_u64_u32 v[0:1], s[0:1], v3, s8, v[2:3]
	v_not_b32_e32 v2, v35
	v_not_b32_e32 v12, v34
	s_mov_b32 s8, 0x800000
	v_bcnt_u32_b32 v39, v32, v13
	v_and_b32_e32 v13, s11, v12
	v_and_b32_e32 v31, s11, v2
	;; [unrolled: 1-line block ×3, first 2 shown]
	v_mov_b32_e32 v30, 0x4f800000
	v_and_b32_e32 v12, v31, v12
	v_and_b32_e32 v32, v13, v19
	;; [unrolled: 1-line block ×4, first 2 shown]
	v_cmp_gt_f32_e32 vcc, s8, v33
	v_and_b32_e32 v17, v31, v17
	v_bcnt_u32_b32 v31, v16, v9
	v_bcnt_u32_b32 v16, v13, v10
	;; [unrolled: 1-line block ×3, first 2 shown]
	v_cndmask_b32_e32 v7, 1.0, v30, vcc
	v_mul_f32_e32 v7, v33, v7
	v_log_f32_e32 v7, v7
	s_mov_b32 s4, 0x3f317217
	v_bcnt_u32_b32 v19, v17, v11
	s_mov_b32 s5, 0x7f800000
	v_mul_f32_e32 v10, 0x3f317217, v7
	v_fma_f32 v11, v7, s4, -v10
	v_mov_b32_e32 v1, 0x41b17218
	v_fmac_f32_e32 v11, 0x3377d1cf, v7
	v_bcnt_u32_b32 v12, v32, v6
	v_cndmask_b32_e32 v6, 0, v1, vcc
	v_add_f32_e32 v10, v10, v11
	v_cmp_lt_f32_e64 vcc, |v7|, s5
	v_cndmask_b32_e32 v7, v7, v10, vcc
	v_sub_f32_e32 v7, v7, v6
	v_bcnt_u32_b32 v29, v36, v8
	s_mov_b32 s0, 0.5
	s_mov_b32 s1, -1.0
	v_cvt_f32_u32_e32 v3, v39
	v_cvt_f32_u32_e32 v2, v38
	;; [unrolled: 1-line block ×4, first 2 shown]
	s_waitcnt vmcnt(0)
	v_and_b32_e32 v6, v24, v4
	v_bcnt_u32_b32 v17, v6, v28
	v_cvt_f32_u32_e32 v6, v17
	v_add3_u32 v36, v37, v17, 1
	v_cvt_f32_u32_e32 v32, v36
	v_and_b32_e32 v10, v24, v5
	v_and_b32_e32 v11, v25, v5
	v_cmp_gt_f32_e32 vcc, s8, v6
	v_bcnt_u32_b32 v18, v11, v27
	v_bcnt_u32_b32 v28, v10, v26
	v_cndmask_b32_e32 v40, 1.0, v30, vcc
	v_pk_add_f32 v[10:11], v[6:7], s[0:1] op_sel_hi:[0,1]
	v_cmp_gt_f32_e64 s[0:1], s8, v32
	v_cndmask_b32_e64 v41, 1.0, v30, s[0:1]
	v_mul_f32_e32 v6, v6, v40
	v_pk_add_f32 v[26:27], v[32:33], 0.5 op_sel_hi:[1,0]
	v_pk_add_f32 v[34:35], -1.0, v[32:33] op_sel_hi:[0,1]
	v_mul_f32_e32 v32, v32, v41
	v_log_f32_e32 v6, v6
	v_log_f32_e32 v32, v32
	v_cndmask_b32_e32 v33, 0, v1, vcc
	v_cndmask_b32_e64 v40, 0, v1, s[0:1]
	v_mul_f32_e32 v41, 0x3f317217, v6
	v_mul_f32_e32 v42, 0x3f317217, v32
	v_fma_f32 v43, v6, s4, -v41
	v_fma_f32 v44, v32, s4, -v42
	v_fmac_f32_e32 v43, 0x3377d1cf, v6
	v_fmac_f32_e32 v44, 0x3377d1cf, v32
	v_add_f32_e32 v41, v41, v43
	v_cmp_lt_f32_e64 vcc, |v6|, s5
	v_add_f32_e32 v42, v42, v44
	v_cndmask_b32_e32 v6, v6, v41, vcc
	v_cmp_lt_f32_e64 vcc, |v32|, s5
	v_cndmask_b32_e32 v32, v32, v42, vcc
	v_sub_f32_e32 v33, v6, v33
	v_sub_f32_e32 v6, v32, v40
	v_pk_fma_f32 v[6:7], v[26:27], v[6:7], v[34:35] neg_lo:[0,0,1] neg_hi:[0,0,1]
	v_cmp_ne_u32_e32 vcc, 0, v37
	v_cndmask_b32_e32 v7, 0, v7, vcc
	v_cmp_ne_u32_e32 vcc, 0, v36
	v_cndmask_b32_e32 v6, 0, v6, vcc
	v_add3_u32 v27, v39, v18, 1
	v_fma_f32 v10, v10, v33, -v11
	v_sub_f32_e32 v11, v6, v7
	v_cvt_f32_u32_e32 v7, v27
	v_cmp_ne_u32_e32 vcc, 0, v17
	v_cndmask_b32_e32 v10, 0, v10, vcc
	v_add3_u32 v17, v38, v28, 1
	v_cmp_gt_f32_e32 vcc, s8, v7
	v_cndmask_b32_e32 v26, 1.0, v30, vcc
	v_mul_f32_e32 v26, v7, v26
	v_log_f32_e32 v32, v26
	v_cvt_f32_u32_e32 v6, v17
	v_sub_f32_e32 v10, v11, v10
	v_add_f32_e32 v26, 0, v10
	v_mul_f32_e32 v33, 0x3f317217, v32
	v_fma_f32 v34, v32, s4, -v33
	v_fmac_f32_e32 v34, 0x3377d1cf, v32
	v_cmp_gt_f32_e64 s[0:1], s8, v6
	v_add_f32_e32 v33, v33, v34
	v_cndmask_b32_e64 v34, 1.0, v30, s[0:1]
	v_mul_f32_e32 v34, v6, v34
	v_log_f32_e32 v34, v34
	v_cmp_lt_f32_e64 s[2:3], |v32|, s5
	v_cndmask_b32_e64 v32, v32, v33, s[2:3]
	v_cndmask_b32_e32 v33, 0, v1, vcc
	v_sub_f32_e32 v33, v32, v33
	v_mul_f32_e32 v32, 0x3f317217, v34
	v_fma_f32 v35, v34, s4, -v32
	v_fmac_f32_e32 v35, 0x3377d1cf, v34
	v_add_f32_e32 v32, v32, v35
	v_cmp_lt_f32_e64 vcc, |v34|, s5
	v_cndmask_b32_e32 v32, v34, v32, vcc
	v_cndmask_b32_e64 v34, 0, v1, s[0:1]
	v_pk_add_f32 v[10:11], v[6:7], 0.5 op_sel_hi:[1,0]
	v_sub_f32_e32 v32, v32, v34
	v_pk_add_f32 v[6:7], -1.0, v[6:7] op_sel_hi:[0,1]
	v_pk_fma_f32 v[6:7], v[10:11], v[32:33], v[6:7] neg_lo:[0,0,1] neg_hi:[0,0,1]
	v_cmp_ne_u32_e32 vcc, 0, v27
	v_cndmask_b32_e32 v7, 0, v7, vcc
	v_cmp_gt_f32_e32 vcc, s8, v3
	v_cndmask_b32_e32 v10, 1.0, v30, vcc
	v_mul_f32_e32 v10, v3, v10
	v_log_f32_e32 v27, v10
	v_cmp_ne_u32_e64 s[0:1], 0, v17
	v_cndmask_b32_e64 v6, 0, v6, s[0:1]
	v_cmp_gt_f32_e64 s[0:1], s8, v2
	v_mul_f32_e32 v17, 0x3f317217, v27
	v_fma_f32 v32, v27, s4, -v17
	v_fmac_f32_e32 v32, 0x3377d1cf, v27
	v_add_f32_e32 v17, v17, v32
	v_cndmask_b32_e64 v32, 1.0, v30, s[0:1]
	v_mul_f32_e32 v32, v2, v32
	v_log_f32_e32 v32, v32
	v_cmp_lt_f32_e64 s[2:3], |v27|, s5
	v_cndmask_b32_e64 v17, v27, v17, s[2:3]
	v_cndmask_b32_e32 v27, 0, v1, vcc
	v_sub_f32_e32 v33, v17, v27
	v_mul_f32_e32 v17, 0x3f317217, v32
	v_fma_f32 v27, v32, s4, -v17
	v_fmac_f32_e32 v27, 0x3377d1cf, v32
	v_add_f32_e32 v17, v17, v27
	v_cmp_lt_f32_e64 vcc, |v32|, s5
	v_cndmask_b32_e32 v17, v32, v17, vcc
	v_cndmask_b32_e64 v27, 0, v1, s[0:1]
	v_pk_add_f32 v[10:11], v[2:3], 0.5 op_sel_hi:[1,0]
	v_sub_f32_e32 v32, v17, v27
	v_pk_add_f32 v[2:3], -1.0, v[2:3] op_sel_hi:[0,1]
	v_pk_fma_f32 v[2:3], v[10:11], v[32:33], v[2:3] neg_lo:[0,0,1] neg_hi:[0,0,1]
	v_cvt_f32_u32_e32 v11, v18
	v_cmp_ne_u32_e32 vcc, 0, v39
	v_cndmask_b32_e32 v3, 0, v3, vcc
	v_cvt_f32_u32_e32 v10, v28
	v_cmp_gt_f32_e32 vcc, s8, v11
	v_cndmask_b32_e32 v17, 1.0, v30, vcc
	v_mul_f32_e32 v17, v11, v17
	v_log_f32_e32 v17, v17
	v_cmp_ne_u32_e64 s[0:1], 0, v38
	v_cndmask_b32_e64 v2, 0, v2, s[0:1]
	v_cmp_gt_f32_e64 s[0:1], s8, v10
	v_mul_f32_e32 v27, 0x3f317217, v17
	v_fma_f32 v32, v17, s4, -v27
	v_fmac_f32_e32 v32, 0x3377d1cf, v17
	v_add_f32_e32 v27, v27, v32
	v_cndmask_b32_e64 v32, 1.0, v30, s[0:1]
	v_mul_f32_e32 v32, v10, v32
	v_log_f32_e32 v32, v32
	v_cmp_lt_f32_e64 s[2:3], |v17|, s5
	v_cndmask_b32_e64 v17, v17, v27, s[2:3]
	v_cndmask_b32_e32 v27, 0, v1, vcc
	v_sub_f32_e32 v33, v17, v27
	v_mul_f32_e32 v17, 0x3f317217, v32
	v_fma_f32 v27, v32, s4, -v17
	v_fmac_f32_e32 v27, 0x3377d1cf, v32
	v_add_f32_e32 v17, v17, v27
	v_cmp_lt_f32_e64 vcc, |v32|, s5
	v_cndmask_b32_e32 v17, v32, v17, vcc
	v_cndmask_b32_e64 v27, 0, v1, s[0:1]
	v_pk_add_f32 v[2:3], v[6:7], v[2:3] neg_lo:[0,1] neg_hi:[0,1]
	v_pk_add_f32 v[6:7], v[10:11], 0.5 op_sel_hi:[1,0]
	v_sub_f32_e32 v32, v17, v27
	v_pk_add_f32 v[10:11], -1.0, v[10:11] op_sel_hi:[0,1]
	v_pk_fma_f32 v[6:7], v[6:7], v[32:33], v[10:11] neg_lo:[0,0,1] neg_hi:[0,0,1]
	v_cmp_ne_u32_e32 vcc, 0, v18
	v_cndmask_b32_e32 v7, 0, v7, vcc
	v_cmp_ne_u32_e32 vcc, 0, v28
	v_or_b32_e32 v18, v25, v24
	v_cndmask_b32_e32 v6, 0, v6, vcc
	v_not_b32_e32 v18, v18
	v_cmp_gt_f32_e32 vcc, s8, v8
	v_and_b32_e32 v34, s22, v18
	v_cndmask_b32_e32 v18, 1.0, v30, vcc
	v_mul_f32_e32 v18, v8, v18
	v_or_b32_e32 v17, v5, v4
	v_log_f32_e32 v32, v18
	v_not_b32_e32 v17, v17
	v_and_b32_e32 v27, s22, v17
	v_and_b32_e32 v17, v34, v17
	;; [unrolled: 1-line block ×3, first 2 shown]
	v_bcnt_u32_b32 v18, v17, v23
	v_bcnt_u32_b32 v17, v28, v22
	v_mul_f32_e32 v28, 0x3f317217, v32
	v_fma_f32 v33, v32, s4, -v28
	v_fmac_f32_e32 v33, 0x3377d1cf, v32
	v_cmp_gt_f32_e64 s[0:1], s8, v9
	v_add_f32_e32 v28, v28, v33
	v_cndmask_b32_e64 v33, 1.0, v30, s[0:1]
	v_mul_f32_e32 v33, v9, v33
	v_log_f32_e32 v33, v33
	v_cmp_lt_f32_e64 s[2:3], |v32|, s5
	v_cndmask_b32_e64 v28, v32, v28, s[2:3]
	v_cndmask_b32_e32 v32, 0, v1, vcc
	v_sub_f32_e32 v32, v28, v32
	v_mul_f32_e32 v28, 0x3f317217, v33
	v_fma_f32 v35, v33, s4, -v28
	v_fmac_f32_e32 v35, 0x3377d1cf, v33
	v_add_f32_e32 v28, v28, v35
	v_cmp_lt_f32_e64 vcc, |v33|, s5
	v_cndmask_b32_e32 v28, v33, v28, vcc
	v_cndmask_b32_e64 v33, 0, v1, s[0:1]
	v_pk_add_f32 v[22:23], v[8:9], 0.5 op_sel_hi:[1,0]
	v_sub_f32_e32 v33, v28, v33
	v_pk_add_f32 v[8:9], -1.0, v[8:9] op_sel_hi:[0,1]
	v_pk_fma_f32 v[8:9], v[22:23], v[32:33], v[8:9] neg_lo:[0,0,1] neg_hi:[0,0,1]
	v_and_b32_e32 v22, v34, v4
	v_and_b32_e32 v4, v25, v4
	v_bcnt_u32_b32 v4, v4, v20
	v_add3_u32 v25, v29, v4, 1
	v_cvt_f32_u32_e32 v20, v25
	v_cmp_ne_u32_e32 vcc, 0, v31
	v_cndmask_b32_e32 v9, 0, v9, vcc
	v_bcnt_u32_b32 v32, v22, v21
	v_cmp_gt_f32_e32 vcc, s8, v20
	v_cndmask_b32_e32 v22, 1.0, v30, vcc
	v_mul_f32_e32 v22, v20, v22
	v_log_f32_e32 v28, v22
	v_add3_u32 v31, v31, v32, 1
	v_cvt_f32_u32_e32 v21, v31
	v_cmp_ne_u32_e64 s[0:1], 0, v29
	v_mul_f32_e32 v29, 0x3f317217, v28
	v_fma_f32 v33, v28, s4, -v29
	v_cndmask_b32_e64 v8, 0, v8, s[0:1]
	v_fmac_f32_e32 v33, 0x3377d1cf, v28
	v_cmp_gt_f32_e64 s[0:1], s8, v21
	v_add_f32_e32 v29, v29, v33
	v_cndmask_b32_e64 v33, 1.0, v30, s[0:1]
	v_mul_f32_e32 v33, v21, v33
	v_log_f32_e32 v33, v33
	v_cmp_lt_f32_e64 s[2:3], |v28|, s5
	v_cndmask_b32_e64 v28, v28, v29, s[2:3]
	v_cndmask_b32_e32 v29, 0, v1, vcc
	v_sub_f32_e32 v28, v28, v29
	v_mul_f32_e32 v29, 0x3f317217, v33
	v_fma_f32 v35, v33, s4, -v29
	v_fmac_f32_e32 v35, 0x3377d1cf, v33
	v_add_f32_e32 v29, v29, v35
	v_cmp_lt_f32_e64 vcc, |v33|, s5
	v_cndmask_b32_e32 v29, v33, v29, vcc
	v_cndmask_b32_e64 v33, 0, v1, s[0:1]
	v_pk_add_f32 v[22:23], v[20:21], 0.5 op_sel_hi:[1,0]
	v_sub_f32_e32 v29, v29, v33
	v_pk_add_f32 v[20:21], -1.0, v[20:21] op_sel_hi:[0,1]
	v_pk_fma_f32 v[20:21], v[22:23], v[28:29], v[20:21] neg_lo:[0,0,1] neg_hi:[0,0,1]
	v_cvt_f32_u32_e32 v22, v4
	v_cmp_ne_u32_e32 vcc, 0, v31
	v_cndmask_b32_e32 v21, 0, v21, vcc
	v_cvt_f32_u32_e32 v23, v32
	v_cmp_gt_f32_e32 vcc, s8, v22
	v_cndmask_b32_e32 v28, 1.0, v30, vcc
	v_mul_f32_e32 v28, v22, v28
	v_log_f32_e32 v28, v28
	v_cmp_ne_u32_e64 s[0:1], 0, v25
	v_cndmask_b32_e64 v20, 0, v20, s[0:1]
	v_cmp_gt_f32_e64 s[0:1], s8, v23
	v_mul_f32_e32 v25, 0x3f317217, v28
	v_fma_f32 v29, v28, s4, -v25
	v_fmac_f32_e32 v29, 0x3377d1cf, v28
	v_add_f32_e32 v25, v25, v29
	v_cndmask_b32_e64 v29, 1.0, v30, s[0:1]
	v_mul_f32_e32 v29, v23, v29
	v_log_f32_e32 v29, v29
	v_cmp_lt_f32_e64 s[2:3], |v28|, s5
	v_cndmask_b32_e64 v25, v28, v25, s[2:3]
	v_cndmask_b32_e32 v28, 0, v1, vcc
	v_sub_f32_e32 v28, v25, v28
	v_mul_f32_e32 v25, 0x3f317217, v29
	v_fma_f32 v31, v29, s4, -v25
	v_fmac_f32_e32 v31, 0x3377d1cf, v29
	v_add_f32_e32 v25, v25, v31
	v_cmp_lt_f32_e64 vcc, |v29|, s5
	v_cndmask_b32_e32 v25, v29, v25, vcc
	v_cndmask_b32_e64 v29, 0, v1, s[0:1]
	v_pk_add_f32 v[10:11], v[2:3], v[6:7] neg_lo:[0,1] neg_hi:[0,1]
	v_cvt_f32_u32_e32 v7, v19
	v_pk_add_f32 v[8:9], v[20:21], v[8:9] neg_lo:[0,1] neg_hi:[0,1]
	v_pk_add_f32 v[20:21], v[22:23], 0.5 op_sel_hi:[1,0]
	v_sub_f32_e32 v29, v25, v29
	v_pk_add_f32 v[22:23], -1.0, v[22:23] op_sel_hi:[0,1]
	v_pk_fma_f32 v[20:21], v[20:21], v[28:29], v[22:23] neg_lo:[0,0,1] neg_hi:[0,0,1]
	v_cmp_ne_u32_e32 vcc, 0, v32
	v_cndmask_b32_e32 v21, 0, v21, vcc
	v_cmp_ne_u32_e32 vcc, 0, v4
	v_cndmask_b32_e32 v20, 0, v20, vcc
	v_pk_add_f32 v[8:9], v[8:9], v[20:21] neg_lo:[0,1] neg_hi:[0,1]
	v_cmp_gt_f32_e32 vcc, s8, v7
	v_add_f32_e32 v4, v26, v8
	v_cndmask_b32_e32 v8, 1.0, v30, vcc
	v_mul_f32_e32 v8, v7, v8
	v_log_f32_e32 v20, v8
	v_cvt_f32_u32_e32 v6, v16
	v_add_f32_e32 v4, v4, v9
	v_add_f32_e32 v4, v4, v10
	;; [unrolled: 1-line block ×3, first 2 shown]
	v_mul_f32_e32 v4, 0x3f317217, v20
	v_fma_f32 v10, v20, s4, -v4
	v_fmac_f32_e32 v10, 0x3377d1cf, v20
	v_cmp_gt_f32_e64 s[0:1], s8, v6
	v_add_f32_e32 v4, v4, v10
	v_cndmask_b32_e64 v10, 1.0, v30, s[0:1]
	v_mul_f32_e32 v10, v6, v10
	v_log_f32_e32 v10, v10
	v_cmp_lt_f32_e64 s[2:3], |v20|, s5
	v_cndmask_b32_e64 v4, v20, v4, s[2:3]
	v_cndmask_b32_e32 v11, 0, v1, vcc
	v_sub_f32_e32 v11, v4, v11
	v_mul_f32_e32 v4, 0x3f317217, v10
	v_fma_f32 v20, v10, s4, -v4
	v_fmac_f32_e32 v20, 0x3377d1cf, v10
	v_and_b32_e32 v5, v34, v5
	v_add_f32_e32 v4, v4, v20
	v_cmp_lt_f32_e64 vcc, |v10|, s5
	v_bcnt_u32_b32 v15, v5, v15
	v_cndmask_b32_e32 v4, v10, v4, vcc
	v_cmp_ne_u32_e32 vcc, 0, v19
	v_add3_u32 v19, v19, v15, 1
	v_cvt_f32_u32_e32 v5, v19
	v_cndmask_b32_e64 v10, 0, v1, s[0:1]
	v_pk_add_f32 v[8:9], v[6:7], 0.5 op_sel_hi:[1,0]
	v_sub_f32_e32 v10, v4, v10
	v_pk_add_f32 v[6:7], -1.0, v[6:7] op_sel_hi:[0,1]
	v_pk_fma_f32 v[6:7], v[8:9], v[10:11], v[6:7] neg_lo:[0,0,1] neg_hi:[0,0,1]
	v_cndmask_b32_e32 v7, 0, v7, vcc
	v_cmp_gt_f32_e32 vcc, s8, v5
	v_cndmask_b32_e32 v8, 1.0, v30, vcc
	v_and_b32_e32 v4, v27, v24
	v_mul_f32_e32 v8, v5, v8
	v_bcnt_u32_b32 v14, v4, v14
	v_log_f32_e32 v10, v8
	v_add3_u32 v20, v16, v14, 1
	v_cvt_f32_u32_e32 v4, v20
	v_cmp_ne_u32_e64 s[0:1], 0, v16
	v_mul_f32_e32 v11, 0x3f317217, v10
	v_fma_f32 v16, v10, s4, -v11
	v_cndmask_b32_e64 v6, 0, v6, s[0:1]
	v_fmac_f32_e32 v16, 0x3377d1cf, v10
	v_cmp_gt_f32_e64 s[0:1], s8, v4
	v_add_f32_e32 v11, v11, v16
	v_cndmask_b32_e64 v16, 1.0, v30, s[0:1]
	v_mul_f32_e32 v16, v4, v16
	v_log_f32_e32 v16, v16
	v_cmp_lt_f32_e64 s[2:3], |v10|, s5
	v_cndmask_b32_e64 v10, v10, v11, s[2:3]
	v_cndmask_b32_e32 v11, 0, v1, vcc
	v_sub_f32_e32 v11, v10, v11
	v_mul_f32_e32 v10, 0x3f317217, v16
	v_fma_f32 v22, v16, s4, -v10
	v_fmac_f32_e32 v22, 0x3377d1cf, v16
	v_add_f32_e32 v10, v10, v22
	v_cmp_lt_f32_e64 vcc, |v16|, s5
	v_cndmask_b32_e32 v10, v16, v10, vcc
	v_cndmask_b32_e64 v16, 0, v1, s[0:1]
	v_pk_add_f32 v[8:9], v[4:5], 0.5 op_sel_hi:[1,0]
	v_sub_f32_e32 v10, v10, v16
	v_pk_add_f32 v[4:5], -1.0, v[4:5] op_sel_hi:[0,1]
	v_pk_fma_f32 v[4:5], v[8:9], v[10:11], v[4:5] neg_lo:[0,0,1] neg_hi:[0,0,1]
	v_cvt_f32_u32_e32 v9, v15
	v_cmp_ne_u32_e32 vcc, 0, v19
	v_cndmask_b32_e32 v5, 0, v5, vcc
	v_cvt_f32_u32_e32 v8, v14
	v_cmp_gt_f32_e32 vcc, s8, v9
	v_cndmask_b32_e32 v10, 1.0, v30, vcc
	v_mul_f32_e32 v10, v9, v10
	v_log_f32_e32 v10, v10
	v_cmp_ne_u32_e64 s[0:1], 0, v20
	v_cndmask_b32_e64 v4, 0, v4, s[0:1]
	v_cmp_gt_f32_e64 s[0:1], s8, v8
	v_mul_f32_e32 v11, 0x3f317217, v10
	v_fma_f32 v16, v10, s4, -v11
	v_fmac_f32_e32 v16, 0x3377d1cf, v10
	v_add_f32_e32 v11, v11, v16
	v_cndmask_b32_e64 v16, 1.0, v30, s[0:1]
	v_mul_f32_e32 v16, v8, v16
	v_log_f32_e32 v16, v16
	v_cmp_lt_f32_e64 s[2:3], |v10|, s5
	v_cndmask_b32_e64 v10, v10, v11, s[2:3]
	v_cndmask_b32_e32 v11, 0, v1, vcc
	v_sub_f32_e32 v11, v10, v11
	v_mul_f32_e32 v10, 0x3f317217, v16
	v_fma_f32 v19, v16, s4, -v10
	v_fmac_f32_e32 v19, 0x3377d1cf, v16
	v_add_f32_e32 v10, v10, v19
	v_cmp_lt_f32_e64 vcc, |v16|, s5
	v_cndmask_b32_e32 v10, v16, v10, vcc
	v_cndmask_b32_e64 v16, 0, v1, s[0:1]
	v_pk_add_f32 v[4:5], v[4:5], v[6:7] neg_lo:[0,1] neg_hi:[0,1]
	v_pk_add_f32 v[6:7], v[8:9], 0.5 op_sel_hi:[1,0]
	v_sub_f32_e32 v10, v10, v16
	v_pk_add_f32 v[8:9], -1.0, v[8:9] op_sel_hi:[0,1]
	v_pk_fma_f32 v[6:7], v[6:7], v[10:11], v[8:9] neg_lo:[0,0,1] neg_hi:[0,0,1]
	v_add3_u32 v10, v13, v18, 1
	v_cvt_f32_u32_e32 v9, v10
	v_cmp_ne_u32_e32 vcc, 0, v15
	v_cndmask_b32_e32 v7, 0, v7, vcc
	v_cmp_ne_u32_e32 vcc, 0, v14
	v_cndmask_b32_e32 v6, 0, v6, vcc
	v_cmp_gt_f32_e32 vcc, s8, v9
	v_pk_add_f32 v[4:5], v[4:5], v[6:7] neg_lo:[0,1] neg_hi:[0,1]
	v_cndmask_b32_e32 v6, 1.0, v30, vcc
	v_mul_f32_e32 v6, v9, v6
	v_log_f32_e32 v6, v6
	v_add3_u32 v11, v12, v17, 1
	v_cvt_f32_u32_e32 v8, v11
	v_cvt_f32_u32_e32 v3, v13
	v_mul_f32_e32 v7, 0x3f317217, v6
	v_fma_f32 v15, v6, s4, -v7
	v_fmac_f32_e32 v15, 0x3377d1cf, v6
	v_cmp_gt_f32_e64 s[0:1], s8, v8
	v_add_f32_e32 v7, v7, v15
	v_cndmask_b32_e64 v15, 1.0, v30, s[0:1]
	v_mul_f32_e32 v15, v8, v15
	v_log_f32_e32 v15, v15
	v_cmp_lt_f32_e64 s[2:3], |v6|, s5
	v_cndmask_b32_e64 v6, v6, v7, s[2:3]
	v_cndmask_b32_e32 v7, 0, v1, vcc
	v_sub_f32_e32 v7, v6, v7
	v_mul_f32_e32 v6, 0x3f317217, v15
	v_fma_f32 v16, v15, s4, -v6
	v_fmac_f32_e32 v16, 0x3377d1cf, v15
	v_add_f32_e32 v6, v6, v16
	v_cmp_lt_f32_e64 vcc, |v15|, s5
	v_add_f32_e32 v5, v21, v5
	v_cndmask_b32_e32 v6, v15, v6, vcc
	v_cndmask_b32_e64 v15, 0, v1, s[0:1]
	v_add_f32_e32 v14, v5, v4
	v_pk_add_f32 v[4:5], v[8:9], 0.5 op_sel_hi:[1,0]
	v_sub_f32_e32 v6, v6, v15
	v_pk_add_f32 v[8:9], -1.0, v[8:9] op_sel_hi:[0,1]
	v_pk_fma_f32 v[4:5], v[4:5], v[6:7], v[8:9] neg_lo:[0,0,1] neg_hi:[0,0,1]
	v_cmp_ne_u32_e32 vcc, 0, v10
	v_cndmask_b32_e32 v5, 0, v5, vcc
	v_cmp_gt_f32_e32 vcc, s8, v3
	v_cndmask_b32_e32 v6, 1.0, v30, vcc
	v_mul_f32_e32 v6, v3, v6
	v_log_f32_e32 v8, v6
	v_cvt_f32_u32_e32 v2, v12
	v_cmp_ne_u32_e64 s[0:1], 0, v11
	v_cndmask_b32_e64 v4, 0, v4, s[0:1]
	v_mul_f32_e32 v9, 0x3f317217, v8
	v_fma_f32 v10, v8, s4, -v9
	v_fmac_f32_e32 v10, 0x3377d1cf, v8
	v_cmp_gt_f32_e64 s[0:1], s8, v2
	v_add_f32_e32 v9, v9, v10
	v_cndmask_b32_e64 v10, 1.0, v30, s[0:1]
	v_mul_f32_e32 v10, v2, v10
	v_log_f32_e32 v10, v10
	v_cmp_lt_f32_e64 s[2:3], |v8|, s5
	v_cndmask_b32_e64 v8, v8, v9, s[2:3]
	v_cndmask_b32_e32 v9, 0, v1, vcc
	v_sub_f32_e32 v9, v8, v9
	v_mul_f32_e32 v8, 0x3f317217, v10
	v_fma_f32 v11, v10, s4, -v8
	v_fmac_f32_e32 v11, 0x3377d1cf, v10
	v_add_f32_e32 v8, v8, v11
	v_cmp_lt_f32_e64 vcc, |v10|, s5
	v_cndmask_b32_e32 v8, v10, v8, vcc
	v_cndmask_b32_e64 v10, 0, v1, s[0:1]
	v_pk_add_f32 v[6:7], v[2:3], 0.5 op_sel_hi:[1,0]
	v_sub_f32_e32 v8, v8, v10
	v_pk_add_f32 v[2:3], -1.0, v[2:3] op_sel_hi:[0,1]
	v_pk_fma_f32 v[2:3], v[6:7], v[8:9], v[2:3] neg_lo:[0,0,1] neg_hi:[0,0,1]
	v_cvt_f32_u32_e32 v7, v18
	v_cmp_ne_u32_e32 vcc, 0, v13
	v_cndmask_b32_e32 v3, 0, v3, vcc
	v_cvt_f32_u32_e32 v6, v17
	v_cmp_gt_f32_e32 vcc, s8, v7
	v_cndmask_b32_e32 v8, 1.0, v30, vcc
	v_mul_f32_e32 v8, v7, v8
	v_log_f32_e32 v8, v8
	v_cmp_ne_u32_e64 s[0:1], 0, v12
	v_cndmask_b32_e64 v2, 0, v2, s[0:1]
	v_cmp_gt_f32_e64 s[0:1], s8, v6
	v_mul_f32_e32 v9, 0x3f317217, v8
	v_fma_f32 v10, v8, s4, -v9
	v_fmac_f32_e32 v10, 0x3377d1cf, v8
	v_add_f32_e32 v9, v9, v10
	v_cndmask_b32_e64 v10, 1.0, v30, s[0:1]
	v_mul_f32_e32 v10, v6, v10
	v_log_f32_e32 v10, v10
	v_cmp_lt_f32_e64 s[2:3], |v8|, s5
	v_cndmask_b32_e64 v8, v8, v9, s[2:3]
	v_cndmask_b32_e32 v9, 0, v1, vcc
	v_sub_f32_e32 v9, v8, v9
	v_mul_f32_e32 v8, 0x3f317217, v10
	v_fma_f32 v11, v10, s4, -v8
	v_fmac_f32_e32 v11, 0x3377d1cf, v10
	v_add_f32_e32 v8, v8, v11
	v_cmp_lt_f32_e64 vcc, |v10|, s5
	v_cndmask_b32_e32 v8, v10, v8, vcc
	v_cndmask_b32_e64 v1, 0, v1, s[0:1]
	v_pk_add_f32 v[2:3], v[4:5], v[2:3] neg_lo:[0,1] neg_hi:[0,1]
	v_pk_add_f32 v[4:5], v[6:7], 0.5 op_sel_hi:[1,0]
	v_sub_f32_e32 v8, v8, v1
	v_pk_add_f32 v[6:7], -1.0, v[6:7] op_sel_hi:[0,1]
	v_pk_fma_f32 v[4:5], v[4:5], v[8:9], v[6:7] neg_lo:[0,0,1] neg_hi:[0,0,1]
	v_cmp_ne_u32_e32 vcc, 0, v18
	v_cndmask_b32_e32 v5, 0, v5, vcc
	v_cmp_ne_u32_e32 vcc, 0, v17
	v_cndmask_b32_e32 v4, 0, v4, vcc
	v_pk_add_f32 v[2:3], v[2:3], v[4:5] neg_lo:[0,1] neg_hi:[0,1]
	v_add_f32_e32 v1, v14, v2
	v_add_f32_e32 v1, v1, v3
	v_mov_b32_e32 v2, 0x7f7fffff
	v_cmp_neq_f32_e32 vcc, 0, v1
	v_cndmask_b32_e64 v2, v2, |v1|, vcc
	v_ashrrev_i32_e32 v1, 31, v0
	v_lshlrev_b64 v[0:1], 2, v[0:1]
	v_mov_b32_e32 v3, s7
	v_add_co_u32_e32 v0, vcc, s6, v0
	v_addc_co_u32_e32 v1, vcc, v3, v1, vcc
	global_store_dword v[0:1], v2, off
.LBB0_18:
	s_endpgm
	.section	.rodata,"a",@progbits
	.p2align	6, 0x0
	.amdhsa_kernel _Z3epiPKjS0_Pfiiiii
		.amdhsa_group_segment_fixed_size 0
		.amdhsa_private_segment_fixed_size 0
		.amdhsa_kernarg_size 304
		.amdhsa_user_sgpr_count 6
		.amdhsa_user_sgpr_private_segment_buffer 1
		.amdhsa_user_sgpr_dispatch_ptr 0
		.amdhsa_user_sgpr_queue_ptr 0
		.amdhsa_user_sgpr_kernarg_segment_ptr 1
		.amdhsa_user_sgpr_dispatch_id 0
		.amdhsa_user_sgpr_flat_scratch_init 0
		.amdhsa_user_sgpr_kernarg_preload_length 0
		.amdhsa_user_sgpr_kernarg_preload_offset 0
		.amdhsa_user_sgpr_private_segment_size 0
		.amdhsa_uses_dynamic_stack 0
		.amdhsa_system_sgpr_private_segment_wavefront_offset 0
		.amdhsa_system_sgpr_workgroup_id_x 1
		.amdhsa_system_sgpr_workgroup_id_y 1
		.amdhsa_system_sgpr_workgroup_id_z 0
		.amdhsa_system_sgpr_workgroup_info 0
		.amdhsa_system_vgpr_workitem_id 1
		.amdhsa_next_free_vgpr 64
		.amdhsa_next_free_sgpr 32
		.amdhsa_accum_offset 64
		.amdhsa_reserve_vcc 1
		.amdhsa_reserve_flat_scratch 0
		.amdhsa_float_round_mode_32 0
		.amdhsa_float_round_mode_16_64 0
		.amdhsa_float_denorm_mode_32 3
		.amdhsa_float_denorm_mode_16_64 3
		.amdhsa_dx10_clamp 1
		.amdhsa_ieee_mode 1
		.amdhsa_fp16_overflow 0
		.amdhsa_tg_split 0
		.amdhsa_exception_fp_ieee_invalid_op 0
		.amdhsa_exception_fp_denorm_src 0
		.amdhsa_exception_fp_ieee_div_zero 0
		.amdhsa_exception_fp_ieee_overflow 0
		.amdhsa_exception_fp_ieee_underflow 0
		.amdhsa_exception_fp_ieee_inexact 0
		.amdhsa_exception_int_div_zero 0
	.end_amdhsa_kernel
	.text
.Lfunc_end0:
	.size	_Z3epiPKjS0_Pfiiiii, .Lfunc_end0-_Z3epiPKjS0_Pfiiiii
                                        ; -- End function
	.section	.AMDGPU.csdata,"",@progbits
; Kernel info:
; codeLenInByte = 5748
; NumSgprs: 36
; NumVgprs: 64
; NumAgprs: 0
; TotalNumVgprs: 64
; ScratchSize: 0
; MemoryBound: 0
; FloatMode: 240
; IeeeMode: 1
; LDSByteSize: 0 bytes/workgroup (compile time only)
; SGPRBlocks: 4
; VGPRBlocks: 7
; NumSGPRsForWavesPerEU: 36
; NumVGPRsForWavesPerEU: 64
; AccumOffset: 64
; Occupancy: 8
; WaveLimiterHint : 0
; COMPUTE_PGM_RSRC2:SCRATCH_EN: 0
; COMPUTE_PGM_RSRC2:USER_SGPR: 6
; COMPUTE_PGM_RSRC2:TRAP_HANDLER: 0
; COMPUTE_PGM_RSRC2:TGID_X_EN: 1
; COMPUTE_PGM_RSRC2:TGID_Y_EN: 1
; COMPUTE_PGM_RSRC2:TGID_Z_EN: 0
; COMPUTE_PGM_RSRC2:TIDIG_COMP_CNT: 1
; COMPUTE_PGM_RSRC3_GFX90A:ACCUM_OFFSET: 15
; COMPUTE_PGM_RSRC3_GFX90A:TG_SPLIT: 0
	.text
	.p2alignl 6, 3212836864
	.fill 256, 4, 3212836864
	.type	__hip_cuid_3903f2a8fa58f6cf,@object ; @__hip_cuid_3903f2a8fa58f6cf
	.section	.bss,"aw",@nobits
	.globl	__hip_cuid_3903f2a8fa58f6cf
__hip_cuid_3903f2a8fa58f6cf:
	.byte	0                               ; 0x0
	.size	__hip_cuid_3903f2a8fa58f6cf, 1

	.ident	"AMD clang version 19.0.0git (https://github.com/RadeonOpenCompute/llvm-project roc-6.4.0 25133 c7fe45cf4b819c5991fe208aaa96edf142730f1d)"
	.section	".note.GNU-stack","",@progbits
	.addrsig
	.addrsig_sym __hip_cuid_3903f2a8fa58f6cf
	.amdgpu_metadata
---
amdhsa.kernels:
  - .agpr_count:     0
    .args:
      - .address_space:  global
        .offset:         0
        .size:           8
        .value_kind:     global_buffer
      - .address_space:  global
        .offset:         8
        .size:           8
        .value_kind:     global_buffer
      - .address_space:  global
        .offset:         16
        .size:           8
        .value_kind:     global_buffer
      - .offset:         24
        .size:           4
        .value_kind:     by_value
      - .offset:         28
        .size:           4
        .value_kind:     by_value
      - .offset:         32
        .size:           4
        .value_kind:     by_value
      - .offset:         36
        .size:           4
        .value_kind:     by_value
      - .offset:         40
        .size:           4
        .value_kind:     by_value
      - .offset:         48
        .size:           4
        .value_kind:     hidden_block_count_x
      - .offset:         52
        .size:           4
        .value_kind:     hidden_block_count_y
      - .offset:         56
        .size:           4
        .value_kind:     hidden_block_count_z
      - .offset:         60
        .size:           2
        .value_kind:     hidden_group_size_x
      - .offset:         62
        .size:           2
        .value_kind:     hidden_group_size_y
      - .offset:         64
        .size:           2
        .value_kind:     hidden_group_size_z
      - .offset:         66
        .size:           2
        .value_kind:     hidden_remainder_x
      - .offset:         68
        .size:           2
        .value_kind:     hidden_remainder_y
      - .offset:         70
        .size:           2
        .value_kind:     hidden_remainder_z
      - .offset:         88
        .size:           8
        .value_kind:     hidden_global_offset_x
      - .offset:         96
        .size:           8
        .value_kind:     hidden_global_offset_y
      - .offset:         104
        .size:           8
        .value_kind:     hidden_global_offset_z
      - .offset:         112
        .size:           2
        .value_kind:     hidden_grid_dims
    .group_segment_fixed_size: 0
    .kernarg_segment_align: 8
    .kernarg_segment_size: 304
    .language:       OpenCL C
    .language_version:
      - 2
      - 0
    .max_flat_workgroup_size: 1024
    .name:           _Z3epiPKjS0_Pfiiiii
    .private_segment_fixed_size: 0
    .sgpr_count:     36
    .sgpr_spill_count: 0
    .symbol:         _Z3epiPKjS0_Pfiiiii.kd
    .uniform_work_group_size: 1
    .uses_dynamic_stack: false
    .vgpr_count:     64
    .vgpr_spill_count: 0
    .wavefront_size: 64
amdhsa.target:   amdgcn-amd-amdhsa--gfx90a
amdhsa.version:
  - 1
  - 2
...

	.end_amdgpu_metadata
